;; amdgpu-corpus repo=ROCm/rocFFT kind=compiled arch=gfx906 opt=O3
	.text
	.amdgcn_target "amdgcn-amd-amdhsa--gfx906"
	.amdhsa_code_object_version 6
	.protected	fft_rtc_back_len162_factors_6_3_3_3_wgs_243_tpt_27_halfLds_sp_ip_CI_unitstride_sbrr_C2R_dirReg ; -- Begin function fft_rtc_back_len162_factors_6_3_3_3_wgs_243_tpt_27_halfLds_sp_ip_CI_unitstride_sbrr_C2R_dirReg
	.globl	fft_rtc_back_len162_factors_6_3_3_3_wgs_243_tpt_27_halfLds_sp_ip_CI_unitstride_sbrr_C2R_dirReg
	.p2align	8
	.type	fft_rtc_back_len162_factors_6_3_3_3_wgs_243_tpt_27_halfLds_sp_ip_CI_unitstride_sbrr_C2R_dirReg,@function
fft_rtc_back_len162_factors_6_3_3_3_wgs_243_tpt_27_halfLds_sp_ip_CI_unitstride_sbrr_C2R_dirReg: ; @fft_rtc_back_len162_factors_6_3_3_3_wgs_243_tpt_27_halfLds_sp_ip_CI_unitstride_sbrr_C2R_dirReg
; %bb.0:
	s_load_dwordx2 s[2:3], s[4:5], 0x50
	s_load_dwordx4 s[8:11], s[4:5], 0x0
	s_load_dwordx2 s[12:13], s[4:5], 0x18
	v_mul_u32_u24_e32 v1, 0x97c, v0
	v_lshrrev_b32_e32 v1, 16, v1
	v_mad_u64_u32 v[1:2], s[0:1], s6, 9, v[1:2]
	v_mov_b32_e32 v5, 0
	s_waitcnt lgkmcnt(0)
	v_cmp_lt_u64_e64 s[0:1], s[10:11], 2
	v_mov_b32_e32 v2, v5
	v_mov_b32_e32 v3, 0
	;; [unrolled: 1-line block ×3, first 2 shown]
	s_and_b64 vcc, exec, s[0:1]
	v_mov_b32_e32 v4, 0
	v_mov_b32_e32 v9, v1
	s_cbranch_vccnz .LBB0_8
; %bb.1:
	s_load_dwordx2 s[0:1], s[4:5], 0x10
	s_add_u32 s6, s12, 8
	s_addc_u32 s7, s13, 0
	v_mov_b32_e32 v3, 0
	v_mov_b32_e32 v8, v2
	s_waitcnt lgkmcnt(0)
	s_add_u32 s16, s0, 8
	s_mov_b64 s[14:15], 1
	v_mov_b32_e32 v4, 0
	s_addc_u32 s17, s1, 0
	v_mov_b32_e32 v7, v1
.LBB0_2:                                ; =>This Inner Loop Header: Depth=1
	s_load_dwordx2 s[18:19], s[16:17], 0x0
                                        ; implicit-def: $vgpr9_vgpr10
	s_waitcnt lgkmcnt(0)
	v_or_b32_e32 v6, s19, v8
	v_cmp_ne_u64_e32 vcc, 0, v[5:6]
	s_and_saveexec_b64 s[0:1], vcc
	s_xor_b64 s[20:21], exec, s[0:1]
	s_cbranch_execz .LBB0_4
; %bb.3:                                ;   in Loop: Header=BB0_2 Depth=1
	v_cvt_f32_u32_e32 v2, s18
	v_cvt_f32_u32_e32 v6, s19
	s_sub_u32 s0, 0, s18
	s_subb_u32 s1, 0, s19
	v_mac_f32_e32 v2, 0x4f800000, v6
	v_rcp_f32_e32 v2, v2
	v_mul_f32_e32 v2, 0x5f7ffffc, v2
	v_mul_f32_e32 v6, 0x2f800000, v2
	v_trunc_f32_e32 v6, v6
	v_mac_f32_e32 v2, 0xcf800000, v6
	v_cvt_u32_f32_e32 v6, v6
	v_cvt_u32_f32_e32 v2, v2
	v_mul_lo_u32 v9, s0, v6
	v_mul_hi_u32 v10, s0, v2
	v_mul_lo_u32 v12, s1, v2
	v_mul_lo_u32 v11, s0, v2
	v_add_u32_e32 v9, v10, v9
	v_add_u32_e32 v9, v9, v12
	v_mul_hi_u32 v10, v2, v11
	v_mul_lo_u32 v12, v2, v9
	v_mul_hi_u32 v14, v2, v9
	v_mul_hi_u32 v13, v6, v11
	v_mul_lo_u32 v11, v6, v11
	v_mul_hi_u32 v15, v6, v9
	v_add_co_u32_e32 v10, vcc, v10, v12
	v_addc_co_u32_e32 v12, vcc, 0, v14, vcc
	v_mul_lo_u32 v9, v6, v9
	v_add_co_u32_e32 v10, vcc, v10, v11
	v_addc_co_u32_e32 v10, vcc, v12, v13, vcc
	v_addc_co_u32_e32 v11, vcc, 0, v15, vcc
	v_add_co_u32_e32 v9, vcc, v10, v9
	v_addc_co_u32_e32 v10, vcc, 0, v11, vcc
	v_add_co_u32_e32 v2, vcc, v2, v9
	v_addc_co_u32_e32 v6, vcc, v6, v10, vcc
	v_mul_lo_u32 v9, s0, v6
	v_mul_hi_u32 v10, s0, v2
	v_mul_lo_u32 v11, s1, v2
	v_mul_lo_u32 v12, s0, v2
	v_add_u32_e32 v9, v10, v9
	v_add_u32_e32 v9, v9, v11
	v_mul_lo_u32 v13, v2, v9
	v_mul_hi_u32 v14, v2, v12
	v_mul_hi_u32 v15, v2, v9
	;; [unrolled: 1-line block ×3, first 2 shown]
	v_mul_lo_u32 v12, v6, v12
	v_mul_hi_u32 v10, v6, v9
	v_add_co_u32_e32 v13, vcc, v14, v13
	v_addc_co_u32_e32 v14, vcc, 0, v15, vcc
	v_mul_lo_u32 v9, v6, v9
	v_add_co_u32_e32 v12, vcc, v13, v12
	v_addc_co_u32_e32 v11, vcc, v14, v11, vcc
	v_addc_co_u32_e32 v10, vcc, 0, v10, vcc
	v_add_co_u32_e32 v9, vcc, v11, v9
	v_addc_co_u32_e32 v10, vcc, 0, v10, vcc
	v_add_co_u32_e32 v2, vcc, v2, v9
	v_addc_co_u32_e32 v6, vcc, v6, v10, vcc
	v_mad_u64_u32 v[9:10], s[0:1], v7, v6, 0
	v_mul_hi_u32 v11, v7, v2
	v_add_co_u32_e32 v13, vcc, v11, v9
	v_addc_co_u32_e32 v14, vcc, 0, v10, vcc
	v_mad_u64_u32 v[9:10], s[0:1], v8, v2, 0
	v_mad_u64_u32 v[11:12], s[0:1], v8, v6, 0
	v_add_co_u32_e32 v2, vcc, v13, v9
	v_addc_co_u32_e32 v2, vcc, v14, v10, vcc
	v_addc_co_u32_e32 v6, vcc, 0, v12, vcc
	v_add_co_u32_e32 v2, vcc, v2, v11
	v_addc_co_u32_e32 v6, vcc, 0, v6, vcc
	v_mul_lo_u32 v11, s19, v2
	v_mul_lo_u32 v12, s18, v6
	v_mad_u64_u32 v[9:10], s[0:1], s18, v2, 0
	v_add3_u32 v10, v10, v12, v11
	v_sub_u32_e32 v11, v8, v10
	v_mov_b32_e32 v12, s19
	v_sub_co_u32_e32 v9, vcc, v7, v9
	v_subb_co_u32_e64 v11, s[0:1], v11, v12, vcc
	v_subrev_co_u32_e64 v12, s[0:1], s18, v9
	v_subbrev_co_u32_e64 v11, s[0:1], 0, v11, s[0:1]
	v_cmp_le_u32_e64 s[0:1], s19, v11
	v_cndmask_b32_e64 v13, 0, -1, s[0:1]
	v_cmp_le_u32_e64 s[0:1], s18, v12
	v_cndmask_b32_e64 v12, 0, -1, s[0:1]
	v_cmp_eq_u32_e64 s[0:1], s19, v11
	v_cndmask_b32_e64 v11, v13, v12, s[0:1]
	v_add_co_u32_e64 v12, s[0:1], 2, v2
	v_addc_co_u32_e64 v13, s[0:1], 0, v6, s[0:1]
	v_add_co_u32_e64 v14, s[0:1], 1, v2
	v_addc_co_u32_e64 v15, s[0:1], 0, v6, s[0:1]
	v_subb_co_u32_e32 v10, vcc, v8, v10, vcc
	v_cmp_ne_u32_e64 s[0:1], 0, v11
	v_cmp_le_u32_e32 vcc, s19, v10
	v_cndmask_b32_e64 v11, v15, v13, s[0:1]
	v_cndmask_b32_e64 v13, 0, -1, vcc
	v_cmp_le_u32_e32 vcc, s18, v9
	v_cndmask_b32_e64 v9, 0, -1, vcc
	v_cmp_eq_u32_e32 vcc, s19, v10
	v_cndmask_b32_e32 v9, v13, v9, vcc
	v_cmp_ne_u32_e32 vcc, 0, v9
	v_cndmask_b32_e32 v10, v6, v11, vcc
	v_cndmask_b32_e64 v6, v14, v12, s[0:1]
	v_cndmask_b32_e32 v9, v2, v6, vcc
.LBB0_4:                                ;   in Loop: Header=BB0_2 Depth=1
	s_andn2_saveexec_b64 s[0:1], s[20:21]
	s_cbranch_execz .LBB0_6
; %bb.5:                                ;   in Loop: Header=BB0_2 Depth=1
	v_cvt_f32_u32_e32 v2, s18
	s_sub_i32 s20, 0, s18
	v_rcp_iflag_f32_e32 v2, v2
	v_mul_f32_e32 v2, 0x4f7ffffe, v2
	v_cvt_u32_f32_e32 v2, v2
	v_mul_lo_u32 v6, s20, v2
	v_mul_hi_u32 v6, v2, v6
	v_add_u32_e32 v2, v2, v6
	v_mul_hi_u32 v2, v7, v2
	v_mul_lo_u32 v6, v2, s18
	v_add_u32_e32 v9, 1, v2
	v_sub_u32_e32 v6, v7, v6
	v_subrev_u32_e32 v10, s18, v6
	v_cmp_le_u32_e32 vcc, s18, v6
	v_cndmask_b32_e32 v6, v6, v10, vcc
	v_cndmask_b32_e32 v2, v2, v9, vcc
	v_add_u32_e32 v9, 1, v2
	v_cmp_le_u32_e32 vcc, s18, v6
	v_cndmask_b32_e32 v9, v2, v9, vcc
	v_mov_b32_e32 v10, v5
.LBB0_6:                                ;   in Loop: Header=BB0_2 Depth=1
	s_or_b64 exec, exec, s[0:1]
	v_mul_lo_u32 v2, v10, s18
	v_mul_lo_u32 v6, v9, s19
	v_mad_u64_u32 v[11:12], s[0:1], v9, s18, 0
	s_load_dwordx2 s[0:1], s[6:7], 0x0
	s_add_u32 s14, s14, 1
	v_add3_u32 v2, v12, v6, v2
	v_sub_co_u32_e32 v6, vcc, v7, v11
	v_subb_co_u32_e32 v2, vcc, v8, v2, vcc
	s_waitcnt lgkmcnt(0)
	v_mul_lo_u32 v2, s0, v2
	v_mul_lo_u32 v7, s1, v6
	v_mad_u64_u32 v[3:4], s[0:1], s0, v6, v[3:4]
	s_addc_u32 s15, s15, 0
	s_add_u32 s6, s6, 8
	v_add3_u32 v4, v7, v4, v2
	v_mov_b32_e32 v6, s10
	v_mov_b32_e32 v7, s11
	s_addc_u32 s7, s7, 0
	v_cmp_ge_u64_e32 vcc, s[14:15], v[6:7]
	s_add_u32 s16, s16, 8
	s_addc_u32 s17, s17, 0
	s_cbranch_vccnz .LBB0_8
; %bb.7:                                ;   in Loop: Header=BB0_2 Depth=1
	v_mov_b32_e32 v7, v9
	v_mov_b32_e32 v8, v10
	s_branch .LBB0_2
.LBB0_8:
	s_lshl_b64 s[0:1], s[10:11], 3
	s_add_u32 s0, s12, s0
	s_addc_u32 s1, s13, s1
	s_load_dwordx2 s[0:1], s[0:1], 0x0
	s_mov_b32 s6, 0x38e38e39
	v_mul_hi_u32 v5, v1, s6
	s_waitcnt lgkmcnt(0)
	v_mul_lo_u32 v6, s0, v10
	v_mul_lo_u32 v7, s1, v9
	v_mad_u64_u32 v[2:3], s[0:1], s0, v9, v[3:4]
	s_load_dwordx2 s[0:1], s[4:5], 0x20
	s_mov_b32 s4, 0x97b425f
	v_lshrrev_b32_e32 v4, 1, v5
	v_mul_hi_u32 v5, v0, s4
	v_lshl_add_u32 v4, v4, 3, v4
	v_add3_u32 v3, v7, v3, v6
	v_sub_u32_e32 v1, v1, v4
	v_mul_u32_u24_e32 v6, 0xa3, v1
	s_waitcnt lgkmcnt(0)
	v_cmp_gt_u64_e32 vcc, s[0:1], v[9:10]
	v_mul_u32_u24_e32 v1, 27, v5
	v_lshlrev_b64 v[2:3], 3, v[2:3]
	v_sub_u32_e32 v0, v0, v1
	v_lshlrev_b32_e32 v10, 3, v6
	s_and_saveexec_b64 s[4:5], vcc
	s_cbranch_execz .LBB0_12
; %bb.9:
	v_mov_b32_e32 v1, 0
	v_mov_b32_e32 v5, s3
	v_add_co_u32_e64 v4, s[0:1], s2, v2
	v_lshlrev_b64 v[7:8], 3, v[0:1]
	v_addc_co_u32_e64 v5, s[0:1], v5, v3, s[0:1]
	v_add_co_u32_e64 v7, s[0:1], v4, v7
	v_addc_co_u32_e64 v8, s[0:1], v5, v8, s[0:1]
	global_load_dwordx2 v[11:12], v[7:8], off
	global_load_dwordx2 v[13:14], v[7:8], off offset:216
	global_load_dwordx2 v[15:16], v[7:8], off offset:432
	;; [unrolled: 1-line block ×5, first 2 shown]
	v_lshlrev_b32_e32 v1, 3, v0
	v_add3_u32 v1, 0, v10, v1
	v_cmp_eq_u32_e64 s[0:1], 26, v0
	s_waitcnt vmcnt(4)
	ds_write2_b64 v1, v[11:12], v[13:14] offset1:27
	s_waitcnt vmcnt(2)
	ds_write2_b64 v1, v[15:16], v[17:18] offset0:54 offset1:81
	s_waitcnt vmcnt(0)
	ds_write2_b64 v1, v[19:20], v[21:22] offset0:108 offset1:135
	s_and_saveexec_b64 s[6:7], s[0:1]
	s_cbranch_execz .LBB0_11
; %bb.10:
	global_load_dwordx2 v[4:5], v[4:5], off offset:1296
	v_mov_b32_e32 v0, 26
	s_waitcnt vmcnt(0)
	ds_write_b64 v1, v[4:5] offset:1088
.LBB0_11:
	s_or_b64 exec, exec, s[6:7]
.LBB0_12:
	s_or_b64 exec, exec, s[4:5]
	v_lshl_add_u32 v8, v6, 3, 0
	v_lshlrev_b32_e32 v12, 3, v0
	v_add_u32_e32 v9, v8, v12
	s_waitcnt lgkmcnt(0)
	s_barrier
	v_sub_u32_e32 v11, v8, v12
	ds_read_b32 v13, v9
	ds_read_b32 v14, v11 offset:1296
	v_cmp_ne_u32_e64 s[0:1], 0, v0
                                        ; implicit-def: $vgpr6_vgpr7
	s_waitcnt lgkmcnt(0)
	v_add_f32_e32 v4, v14, v13
	v_sub_f32_e32 v5, v13, v14
	s_and_saveexec_b64 s[4:5], s[0:1]
	s_xor_b64 s[4:5], exec, s[4:5]
	s_cbranch_execz .LBB0_14
; %bb.13:
	v_mov_b32_e32 v1, 0
	v_lshlrev_b64 v[4:5], 3, v[0:1]
	v_mov_b32_e32 v6, s9
	v_add_co_u32_e64 v4, s[0:1], s8, v4
	v_addc_co_u32_e64 v5, s[0:1], v6, v5, s[0:1]
	global_load_dwordx2 v[6:7], v[4:5], off offset:1248
	ds_read_b32 v4, v11 offset:1300
	ds_read_b32 v5, v9 offset:4
	v_add_f32_e32 v15, v14, v13
	v_sub_f32_e32 v16, v13, v14
	s_waitcnt lgkmcnt(0)
	v_add_f32_e32 v17, v4, v5
	v_sub_f32_e32 v4, v5, v4
	s_waitcnt vmcnt(0)
	v_fma_f32 v18, v16, v7, v15
	v_fma_f32 v5, v17, v7, v4
	v_fma_f32 v13, -v16, v7, v15
	v_fma_f32 v14, v17, v7, -v4
	v_fma_f32 v4, -v6, v17, v18
	v_fmac_f32_e32 v5, v16, v6
	v_fmac_f32_e32 v13, v6, v17
	v_fmac_f32_e32 v14, v16, v6
	v_mov_b32_e32 v7, v1
	ds_write_b64 v11, v[13:14] offset:1296
	v_mov_b32_e32 v6, v0
.LBB0_14:
	s_andn2_saveexec_b64 s[0:1], s[4:5]
	s_cbranch_execz .LBB0_16
; %bb.15:
	ds_read_b64 v[6:7], v8 offset:648
	s_waitcnt lgkmcnt(0)
	v_add_f32_e32 v13, v6, v6
	v_mul_f32_e32 v14, -2.0, v7
	v_mov_b32_e32 v6, 0
	v_mov_b32_e32 v7, 0
	ds_write_b64 v8, v[13:14] offset:648
.LBB0_16:
	s_or_b64 exec, exec, s[0:1]
	s_add_u32 s0, s8, 0x4e0
	v_lshlrev_b64 v[6:7], 3, v[6:7]
	s_addc_u32 s1, s9, 0
	v_mov_b32_e32 v1, s1
	v_add_co_u32_e64 v6, s[0:1], s0, v6
	v_addc_co_u32_e64 v7, s[0:1], v1, v7, s[0:1]
	global_load_dwordx2 v[13:14], v[6:7], off offset:216
	global_load_dwordx2 v[15:16], v[6:7], off offset:432
	ds_write_b64 v9, v[4:5]
	ds_read_b64 v[4:5], v9 offset:216
	ds_read_b64 v[6:7], v11 offset:1080
	s_movk_i32 s0, 0xab
	v_mov_b32_e32 v33, 3
	s_movk_i32 s4, 0x1b0
	s_waitcnt lgkmcnt(0)
	v_add_f32_e32 v1, v4, v6
	v_add_f32_e32 v17, v7, v5
	v_sub_f32_e32 v18, v4, v6
	v_sub_f32_e32 v6, v5, v7
	s_waitcnt vmcnt(1)
	v_fma_f32 v19, v18, v14, v1
	v_fma_f32 v7, v17, v14, v6
	v_fma_f32 v4, -v18, v14, v1
	v_fma_f32 v5, v17, v14, -v6
	v_fma_f32 v6, -v13, v17, v19
	v_fmac_f32_e32 v7, v18, v13
	v_fmac_f32_e32 v4, v13, v17
	;; [unrolled: 1-line block ×3, first 2 shown]
	ds_write_b64 v9, v[6:7] offset:216
	ds_write_b64 v11, v[4:5] offset:1080
	ds_read_b64 v[4:5], v9 offset:432
	ds_read_b64 v[13:14], v11 offset:864
	v_add3_u32 v1, 0, v12, v10
	v_mad_u32_u24 v6, v0, 40, v1
	s_waitcnt lgkmcnt(0)
	v_add_f32_e32 v7, v4, v13
	v_add_f32_e32 v17, v14, v5
	v_sub_f32_e32 v18, v4, v13
	v_sub_f32_e32 v4, v5, v14
	s_waitcnt vmcnt(0)
	v_fma_f32 v14, v18, v16, v7
	v_fma_f32 v5, v17, v16, v4
	v_fma_f32 v12, -v18, v16, v7
	v_fma_f32 v13, v17, v16, -v4
	v_fma_f32 v4, -v15, v17, v14
	v_fmac_f32_e32 v5, v18, v15
	v_fmac_f32_e32 v12, v15, v17
	;; [unrolled: 1-line block ×3, first 2 shown]
	ds_write_b64 v9, v[4:5] offset:432
	ds_write_b64 v11, v[12:13] offset:864
	s_waitcnt lgkmcnt(0)
	s_barrier
	s_barrier
	ds_read2_b64 v[11:14], v1 offset0:81 offset1:108
	ds_read2_b64 v[15:18], v1 offset0:27 offset1:54
	ds_read_b64 v[4:5], v1 offset:1080
	ds_read_b64 v[19:20], v9
	s_waitcnt lgkmcnt(0)
	s_barrier
	v_add_f32_e32 v23, v17, v13
	v_add_f32_e32 v7, v11, v4
	;; [unrolled: 1-line block ×5, first 2 shown]
	v_fma_f32 v7, -0.5, v7, v15
	v_fma_f32 v15, -0.5, v21, v16
	v_sub_f32_e32 v24, v18, v14
	v_add_f32_e32 v25, v20, v18
	v_add_f32_e32 v18, v18, v14
	v_sub_f32_e32 v21, v11, v4
	v_add_f32_e32 v11, v22, v13
	v_fma_f32 v19, -0.5, v23, v19
	v_mov_b32_e32 v22, v15
	v_add_f32_e32 v27, v16, v12
	v_sub_f32_e32 v16, v12, v5
	v_fmac_f32_e32 v20, -0.5, v18
	v_mov_b32_e32 v18, v7
	v_mov_b32_e32 v23, v19
	v_fmac_f32_e32 v22, 0x3f5db3d7, v21
	v_sub_f32_e32 v17, v17, v13
	v_add_f32_e32 v12, v25, v14
	v_add_f32_e32 v13, v26, v4
	v_mov_b32_e32 v25, v20
	v_fmac_f32_e32 v19, 0x3f5db3d7, v24
	v_fmac_f32_e32 v15, 0xbf5db3d7, v21
	;; [unrolled: 1-line block ×4, first 2 shown]
	v_mul_f32_e32 v24, 0xbf5db3d7, v22
	v_mul_f32_e32 v22, 0.5, v22
	v_add_f32_e32 v14, v27, v5
	v_add_f32_e32 v4, v11, v13
	v_sub_f32_e32 v11, v11, v13
	v_fmac_f32_e32 v7, 0x3f5db3d7, v16
	v_fmac_f32_e32 v25, 0x3f5db3d7, v17
	v_mul_f32_e32 v21, 0xbf5db3d7, v15
	v_mul_f32_e32 v13, -0.5, v15
	v_fmac_f32_e32 v24, 0.5, v18
	v_fmac_f32_e32 v22, 0x3f5db3d7, v18
	v_add_f32_e32 v5, v12, v14
	v_fmac_f32_e32 v20, 0xbf5db3d7, v17
	v_fmac_f32_e32 v21, -0.5, v7
	v_fmac_f32_e32 v13, 0x3f5db3d7, v7
	v_add_f32_e32 v17, v23, v24
	v_add_f32_e32 v18, v25, v22
	v_sub_f32_e32 v12, v12, v14
	v_add_f32_e32 v14, v20, v13
	v_sub_f32_e32 v16, v20, v13
	v_add_f32_e32 v13, v19, v21
	ds_write2_b64 v6, v[4:5], v[17:18] offset1:1
	v_add_u32_e32 v7, 27, v0
	v_sub_f32_e32 v4, v23, v24
	v_sub_f32_e32 v15, v19, v21
	;; [unrolled: 1-line block ×3, first 2 shown]
	ds_write2_b64 v6, v[13:14], v[11:12] offset0:2 offset1:3
	ds_write2_b64 v6, v[4:5], v[15:16] offset0:4 offset1:5
	v_mul_lo_u16_sdwa v4, v7, s0 dst_sel:DWORD dst_unused:UNUSED_PAD src0_sel:BYTE_0 src1_sel:DWORD
	v_lshrrev_b16_e32 v26, 10, v4
	v_mul_lo_u16_e32 v4, 6, v26
	v_mov_b32_e32 v25, 4
	v_sub_u16_e32 v27, v7, v4
	v_lshlrev_b32_sdwa v4, v25, v27 dst_sel:DWORD dst_unused:UNUSED_PAD src0_sel:DWORD src1_sel:BYTE_0
	s_waitcnt lgkmcnt(0)
	s_barrier
	global_load_dwordx4 v[11:14], v4, s[8:9]
	v_mul_lo_u16_sdwa v4, v0, s0 dst_sel:DWORD dst_unused:UNUSED_PAD src0_sel:BYTE_0 src1_sel:DWORD
	v_lshrrev_b16_e32 v28, 10, v4
	v_mul_lo_u16_e32 v4, 6, v28
	v_sub_u16_e32 v29, v0, v4
	v_lshlrev_b32_sdwa v4, v25, v29 dst_sel:DWORD dst_unused:UNUSED_PAD src0_sel:DWORD src1_sel:BYTE_0
	global_load_dwordx4 v[15:18], v4, s[8:9]
	ds_read_b64 v[4:5], v1 offset:1080
	ds_read_b64 v[23:24], v9
	ds_read2_b64 v[19:22], v1 offset0:81 offset1:108
	s_movk_i32 s0, 0x90
	s_waitcnt vmcnt(1) lgkmcnt(2)
	v_mul_f32_e32 v30, v14, v5
	v_mul_f32_e32 v14, v14, v4
	v_fmac_f32_e32 v30, v13, v4
	s_waitcnt lgkmcnt(0)
	v_mul_f32_e32 v32, v12, v20
	v_mul_f32_e32 v4, v12, v19
	v_fma_f32 v31, v13, v5, -v14
	v_fmac_f32_e32 v32, v11, v19
	v_fma_f32 v19, v11, v20, -v4
	ds_read2_b64 v[11:14], v1 offset0:27 offset1:54
	s_waitcnt vmcnt(0)
	v_mul_f32_e32 v20, v18, v22
	v_mul_f32_e32 v4, v18, v21
	v_fmac_f32_e32 v20, v17, v21
	v_fma_f32 v4, v17, v22, -v4
	s_waitcnt lgkmcnt(0)
	v_mul_f32_e32 v17, v16, v14
	v_mul_f32_e32 v5, v16, v13
	v_fmac_f32_e32 v17, v15, v13
	v_fma_f32 v5, v15, v14, -v5
	v_mad_u32_u24 v13, v28, s0, 0
	v_mad_u32_u24 v14, v26, s0, 0
	v_lshlrev_b32_sdwa v15, v33, v29 dst_sel:DWORD dst_unused:UNUSED_PAD src0_sel:DWORD src1_sel:BYTE_0
	v_lshlrev_b32_sdwa v16, v33, v27 dst_sel:DWORD dst_unused:UNUSED_PAD src0_sel:DWORD src1_sel:BYTE_0
	v_add3_u32 v21, v13, v15, v10
	v_add3_u32 v22, v14, v16, v10
	v_add_f32_e32 v13, v24, v5
	v_add_f32_e32 v15, v5, v4
	;; [unrolled: 1-line block ×4, first 2 shown]
	v_sub_f32_e32 v18, v5, v4
	v_add_f32_e32 v5, v13, v4
	v_add_f32_e32 v4, v14, v20
	v_sub_f32_e32 v20, v17, v20
	v_sub_f32_e32 v26, v19, v31
	v_add_f32_e32 v13, v12, v19
	v_add_f32_e32 v17, v19, v31
	;; [unrolled: 1-line block ×3, first 2 shown]
	v_fma_f32 v23, -0.5, v16, v23
	v_fmac_f32_e32 v24, -0.5, v15
	v_add_f32_e32 v14, v13, v31
	v_add_f32_e32 v13, v11, v32
	v_fma_f32 v11, -0.5, v19, v11
	v_fmac_f32_e32 v12, -0.5, v17
	v_mov_b32_e32 v15, v23
	v_mov_b32_e32 v16, v24
	v_sub_f32_e32 v27, v32, v30
	v_fmac_f32_e32 v23, 0x3f5db3d7, v18
	v_fmac_f32_e32 v24, 0xbf5db3d7, v20
	;; [unrolled: 1-line block ×3, first 2 shown]
	v_mov_b32_e32 v17, v11
	v_mov_b32_e32 v18, v12
	v_fmac_f32_e32 v16, 0x3f5db3d7, v20
	v_add_f32_e32 v13, v13, v30
	s_barrier
	ds_write_b64 v21, v[23:24] offset:96
	v_fmac_f32_e32 v17, 0xbf5db3d7, v26
	v_fmac_f32_e32 v18, 0x3f5db3d7, v27
	ds_write2_b64 v21, v[4:5], v[15:16] offset1:6
	ds_write2_b64 v22, v[13:14], v[17:18] offset1:6
	v_mov_b32_e32 v4, 57
	v_mul_lo_u16_sdwa v4, v7, v4 dst_sel:DWORD dst_unused:UNUSED_PAD src0_sel:BYTE_0 src1_sel:DWORD
	v_fmac_f32_e32 v11, 0x3f5db3d7, v26
	v_lshrrev_b16_e32 v26, 10, v4
	v_mul_lo_u16_e32 v4, 18, v26
	v_fmac_f32_e32 v12, 0xbf5db3d7, v27
	v_sub_u16_e32 v27, v7, v4
	v_lshlrev_b32_sdwa v4, v25, v27 dst_sel:DWORD dst_unused:UNUSED_PAD src0_sel:DWORD src1_sel:BYTE_0
	ds_write_b64 v22, v[11:12] offset:96
	s_waitcnt lgkmcnt(0)
	s_barrier
	global_load_dwordx4 v[11:14], v4, s[8:9] offset:96
	v_subrev_u32_e32 v4, 18, v0
	v_cmp_gt_u32_e64 s[0:1], 18, v0
	v_cndmask_b32_e64 v25, v4, v0, s[0:1]
	v_mov_b32_e32 v5, 0
	v_lshlrev_b32_e32 v4, 1, v25
	v_lshlrev_b64 v[15:16], 3, v[4:5]
	v_mov_b32_e32 v17, s9
	v_add_co_u32_e64 v15, s[0:1], s8, v15
	v_addc_co_u32_e64 v16, s[0:1], v17, v16, s[0:1]
	global_load_dwordx4 v[15:18], v[15:16], off offset:96
	ds_read_b64 v[19:20], v1 offset:1080
	ds_read_b64 v[23:24], v9
	v_cmp_lt_u32_e64 s[0:1], 17, v0
	s_waitcnt vmcnt(1) lgkmcnt(1)
	v_mul_f32_e32 v4, v14, v20
	v_mul_f32_e32 v14, v14, v19
	v_fmac_f32_e32 v4, v13, v19
	v_fma_f32 v28, v13, v20, -v14
	ds_read2_b64 v[19:22], v1 offset0:81 offset1:108
	s_waitcnt lgkmcnt(0)
	v_mul_f32_e32 v29, v12, v20
	v_mul_f32_e32 v12, v12, v19
	v_fmac_f32_e32 v29, v11, v19
	v_fma_f32 v19, v11, v20, -v12
	v_mov_b32_e32 v11, 0x1b0
	v_cndmask_b32_e64 v11, 0, v11, s[0:1]
	v_add_u32_e32 v11, 0, v11
	v_lshlrev_b32_e32 v12, 3, v25
	v_add3_u32 v20, v11, v12, v10
	v_mad_u32_u24 v25, v26, s4, 0
	v_lshlrev_b32_sdwa v26, v33, v27 dst_sel:DWORD dst_unused:UNUSED_PAD src0_sel:DWORD src1_sel:BYTE_0
	s_waitcnt vmcnt(0)
	v_mul_f32_e32 v27, v18, v22
	v_mul_f32_e32 v11, v18, v21
	v_fmac_f32_e32 v27, v17, v21
	v_fma_f32 v17, v17, v22, -v11
	ds_read2_b64 v[11:14], v1 offset0:27 offset1:54
	v_add3_u32 v10, v25, v26, v10
	v_sub_f32_e32 v25, v19, v28
	v_add_f32_e32 v26, v29, v4
	s_waitcnt lgkmcnt(0)
	v_mul_f32_e32 v18, v16, v14
	v_mul_f32_e32 v16, v16, v13
	v_fmac_f32_e32 v18, v15, v13
	v_fma_f32 v13, v15, v14, -v16
	v_add_f32_e32 v14, v13, v24
	v_add_f32_e32 v15, v13, v17
	v_add_f32_e32 v16, v18, v27
	v_sub_f32_e32 v21, v13, v17
	v_add_f32_e32 v13, v18, v23
	v_sub_f32_e32 v22, v18, v27
	v_add_f32_e32 v14, v14, v17
	v_add_f32_e32 v17, v12, v19
	;; [unrolled: 1-line block ×3, first 2 shown]
	v_fma_f32 v23, -0.5, v16, v23
	v_add_f32_e32 v18, v11, v29
	v_fmac_f32_e32 v24, -0.5, v15
	v_add_f32_e32 v13, v13, v27
	v_add_f32_e32 v16, v17, v28
	;; [unrolled: 1-line block ×3, first 2 shown]
	v_fma_f32 v11, -0.5, v26, v11
	v_mov_b32_e32 v17, v23
	v_mov_b32_e32 v18, v24
	v_fmac_f32_e32 v23, 0x3f5db3d7, v21
	v_fmac_f32_e32 v24, 0xbf5db3d7, v22
	v_fmac_f32_e32 v12, -0.5, v19
	s_barrier
	v_sub_f32_e32 v27, v29, v4
	v_fmac_f32_e32 v17, 0xbf5db3d7, v21
	v_fmac_f32_e32 v18, 0x3f5db3d7, v22
	ds_write_b64 v20, v[23:24] offset:288
	ds_write2_b64 v20, v[13:14], v[17:18] offset1:18
	v_mov_b32_e32 v13, v11
	v_mov_b32_e32 v14, v12
	v_fmac_f32_e32 v13, 0xbf5db3d7, v25
	v_fmac_f32_e32 v14, 0x3f5db3d7, v27
	v_lshlrev_b32_e32 v4, 1, v0
	v_fmac_f32_e32 v11, 0x3f5db3d7, v25
	v_fmac_f32_e32 v12, 0xbf5db3d7, v27
	ds_write2_b64 v10, v[15:16], v[13:14] offset1:18
	ds_write_b64 v10, v[11:12] offset:288
	v_lshlrev_b64 v[14:15], 3, v[4:5]
	v_lshlrev_b32_e32 v4, 1, v7
	v_lshlrev_b64 v[10:11], 3, v[4:5]
	v_mov_b32_e32 v4, s9
	v_add_co_u32_e64 v10, s[0:1], s8, v10
	v_addc_co_u32_e64 v11, s[0:1], v4, v11, s[0:1]
	s_waitcnt lgkmcnt(0)
	s_barrier
	global_load_dwordx4 v[10:13], v[10:11], off offset:384
	v_add_co_u32_e64 v14, s[0:1], s8, v14
	v_addc_co_u32_e64 v15, s[0:1], v4, v15, s[0:1]
	global_load_dwordx4 v[14:17], v[14:15], off offset:384
	s_movk_i32 s0, 0xffd8
	v_mad_i32_i24 v4, v0, s0, v6
	ds_read2_b64 v[18:21], v1 offset0:81 offset1:108
	ds_read2_b64 v[22:25], v1 offset0:27 offset1:54
	ds_read_b64 v[6:7], v1 offset:1080
	ds_read_b64 v[26:27], v9
	s_waitcnt vmcnt(0) lgkmcnt(0)
	s_barrier
	v_mul_f32_e32 v9, v13, v7
	v_mul_f32_e32 v13, v13, v6
	v_fmac_f32_e32 v9, v12, v6
	v_fma_f32 v12, v12, v7, -v13
	v_mul_f32_e32 v6, v11, v19
	v_mul_f32_e32 v7, v11, v18
	v_fmac_f32_e32 v6, v10, v18
	v_fma_f32 v7, v10, v19, -v7
	v_mul_f32_e32 v10, v17, v21
	v_mul_f32_e32 v11, v17, v20
	;; [unrolled: 1-line block ×4, first 2 shown]
	v_fmac_f32_e32 v10, v16, v20
	v_fma_f32 v11, v16, v21, -v11
	v_fmac_f32_e32 v13, v14, v24
	v_fma_f32 v14, v14, v25, -v15
	v_add_f32_e32 v16, v13, v10
	v_add_f32_e32 v18, v14, v11
	v_add_f32_e32 v15, v13, v26
	v_add_f32_e32 v17, v14, v27
	v_add_f32_e32 v20, v23, v7
	v_add_f32_e32 v21, v7, v12
	v_add_f32_e32 v25, v6, v9
	v_fma_f32 v26, -0.5, v16, v26
	v_fmac_f32_e32 v27, -0.5, v18
	v_sub_f32_e32 v14, v14, v11
	v_sub_f32_e32 v13, v13, v10
	;; [unrolled: 1-line block ×3, first 2 shown]
	v_add_f32_e32 v24, v22, v6
	v_sub_f32_e32 v28, v6, v9
	v_add_f32_e32 v6, v15, v10
	v_add_f32_e32 v7, v17, v11
	;; [unrolled: 1-line block ×3, first 2 shown]
	v_fmac_f32_e32 v23, -0.5, v21
	v_fma_f32 v15, -0.5, v25, v22
	v_mov_b32_e32 v11, v26
	v_mov_b32_e32 v12, v27
	v_fmac_f32_e32 v26, 0x3f5db3d7, v14
	v_fmac_f32_e32 v27, 0xbf5db3d7, v13
	v_mov_b32_e32 v16, v15
	v_mov_b32_e32 v17, v23
	v_fmac_f32_e32 v11, 0xbf5db3d7, v14
	v_fmac_f32_e32 v12, 0x3f5db3d7, v13
	v_add_f32_e32 v9, v24, v9
	v_fmac_f32_e32 v15, 0x3f5db3d7, v19
	v_fmac_f32_e32 v23, 0xbf5db3d7, v28
	;; [unrolled: 1-line block ×4, first 2 shown]
	ds_write2_b64 v1, v[11:12], v[26:27] offset0:54 offset1:108
	ds_write2_b64 v1, v[6:7], v[9:10] offset1:27
	ds_write2_b32 v4, v16, v17 offset0:162 offset1:163
	v_add_u32_e32 v1, 0x400, v4
	ds_write2_b32 v1, v15, v23 offset0:14 offset1:15
	s_waitcnt lgkmcnt(0)
	s_barrier
	s_and_saveexec_b64 s[0:1], vcc
	s_cbranch_execz .LBB0_18
; %bb.17:
	v_lshl_add_u32 v10, v0, 3, v8
	v_mov_b32_e32 v1, v5
	ds_read2_b64 v[6:9], v10 offset1:27
	v_mov_b32_e32 v4, s3
	v_add_co_u32_e32 v11, vcc, s2, v2
	v_lshlrev_b64 v[1:2], 3, v[0:1]
	v_addc_co_u32_e32 v3, vcc, v4, v3, vcc
	v_add_co_u32_e32 v1, vcc, v11, v1
	v_addc_co_u32_e32 v2, vcc, v3, v2, vcc
	v_add_u32_e32 v4, 27, v0
	s_waitcnt lgkmcnt(0)
	global_store_dwordx2 v[1:2], v[6:7], off
	v_lshlrev_b64 v[1:2], 3, v[4:5]
	v_add_u32_e32 v4, 54, v0
	v_add_co_u32_e32 v1, vcc, v11, v1
	v_addc_co_u32_e32 v2, vcc, v3, v2, vcc
	global_store_dwordx2 v[1:2], v[8:9], off
	ds_read2_b64 v[6:9], v10 offset0:54 offset1:81
	v_lshlrev_b64 v[1:2], 3, v[4:5]
	v_add_u32_e32 v4, 0x51, v0
	v_add_co_u32_e32 v1, vcc, v11, v1
	v_addc_co_u32_e32 v2, vcc, v3, v2, vcc
	s_waitcnt lgkmcnt(0)
	global_store_dwordx2 v[1:2], v[6:7], off
	v_lshlrev_b64 v[1:2], 3, v[4:5]
	v_add_u32_e32 v4, 0x6c, v0
	v_add_co_u32_e32 v1, vcc, v11, v1
	v_addc_co_u32_e32 v2, vcc, v3, v2, vcc
	global_store_dwordx2 v[1:2], v[8:9], off
	ds_read2_b64 v[6:9], v10 offset0:108 offset1:135
	v_lshlrev_b64 v[1:2], 3, v[4:5]
	v_add_u32_e32 v4, 0x87, v0
	v_add_co_u32_e32 v1, vcc, v11, v1
	v_addc_co_u32_e32 v2, vcc, v3, v2, vcc
	s_waitcnt lgkmcnt(0)
	global_store_dwordx2 v[1:2], v[6:7], off
	v_lshlrev_b64 v[0:1], 3, v[4:5]
	v_add_co_u32_e32 v0, vcc, v11, v0
	v_addc_co_u32_e32 v1, vcc, v3, v1, vcc
	global_store_dwordx2 v[0:1], v[8:9], off
.LBB0_18:
	s_endpgm
	.section	.rodata,"a",@progbits
	.p2align	6, 0x0
	.amdhsa_kernel fft_rtc_back_len162_factors_6_3_3_3_wgs_243_tpt_27_halfLds_sp_ip_CI_unitstride_sbrr_C2R_dirReg
		.amdhsa_group_segment_fixed_size 0
		.amdhsa_private_segment_fixed_size 0
		.amdhsa_kernarg_size 88
		.amdhsa_user_sgpr_count 6
		.amdhsa_user_sgpr_private_segment_buffer 1
		.amdhsa_user_sgpr_dispatch_ptr 0
		.amdhsa_user_sgpr_queue_ptr 0
		.amdhsa_user_sgpr_kernarg_segment_ptr 1
		.amdhsa_user_sgpr_dispatch_id 0
		.amdhsa_user_sgpr_flat_scratch_init 0
		.amdhsa_user_sgpr_private_segment_size 0
		.amdhsa_uses_dynamic_stack 0
		.amdhsa_system_sgpr_private_segment_wavefront_offset 0
		.amdhsa_system_sgpr_workgroup_id_x 1
		.amdhsa_system_sgpr_workgroup_id_y 0
		.amdhsa_system_sgpr_workgroup_id_z 0
		.amdhsa_system_sgpr_workgroup_info 0
		.amdhsa_system_vgpr_workitem_id 0
		.amdhsa_next_free_vgpr 34
		.amdhsa_next_free_sgpr 22
		.amdhsa_reserve_vcc 1
		.amdhsa_reserve_flat_scratch 0
		.amdhsa_float_round_mode_32 0
		.amdhsa_float_round_mode_16_64 0
		.amdhsa_float_denorm_mode_32 3
		.amdhsa_float_denorm_mode_16_64 3
		.amdhsa_dx10_clamp 1
		.amdhsa_ieee_mode 1
		.amdhsa_fp16_overflow 0
		.amdhsa_exception_fp_ieee_invalid_op 0
		.amdhsa_exception_fp_denorm_src 0
		.amdhsa_exception_fp_ieee_div_zero 0
		.amdhsa_exception_fp_ieee_overflow 0
		.amdhsa_exception_fp_ieee_underflow 0
		.amdhsa_exception_fp_ieee_inexact 0
		.amdhsa_exception_int_div_zero 0
	.end_amdhsa_kernel
	.text
.Lfunc_end0:
	.size	fft_rtc_back_len162_factors_6_3_3_3_wgs_243_tpt_27_halfLds_sp_ip_CI_unitstride_sbrr_C2R_dirReg, .Lfunc_end0-fft_rtc_back_len162_factors_6_3_3_3_wgs_243_tpt_27_halfLds_sp_ip_CI_unitstride_sbrr_C2R_dirReg
                                        ; -- End function
	.section	.AMDGPU.csdata,"",@progbits
; Kernel info:
; codeLenInByte = 3956
; NumSgprs: 26
; NumVgprs: 34
; ScratchSize: 0
; MemoryBound: 0
; FloatMode: 240
; IeeeMode: 1
; LDSByteSize: 0 bytes/workgroup (compile time only)
; SGPRBlocks: 3
; VGPRBlocks: 8
; NumSGPRsForWavesPerEU: 26
; NumVGPRsForWavesPerEU: 34
; Occupancy: 7
; WaveLimiterHint : 1
; COMPUTE_PGM_RSRC2:SCRATCH_EN: 0
; COMPUTE_PGM_RSRC2:USER_SGPR: 6
; COMPUTE_PGM_RSRC2:TRAP_HANDLER: 0
; COMPUTE_PGM_RSRC2:TGID_X_EN: 1
; COMPUTE_PGM_RSRC2:TGID_Y_EN: 0
; COMPUTE_PGM_RSRC2:TGID_Z_EN: 0
; COMPUTE_PGM_RSRC2:TIDIG_COMP_CNT: 0
	.type	__hip_cuid_4f9117c7b5a03f4b,@object ; @__hip_cuid_4f9117c7b5a03f4b
	.section	.bss,"aw",@nobits
	.globl	__hip_cuid_4f9117c7b5a03f4b
__hip_cuid_4f9117c7b5a03f4b:
	.byte	0                               ; 0x0
	.size	__hip_cuid_4f9117c7b5a03f4b, 1

	.ident	"AMD clang version 19.0.0git (https://github.com/RadeonOpenCompute/llvm-project roc-6.4.0 25133 c7fe45cf4b819c5991fe208aaa96edf142730f1d)"
	.section	".note.GNU-stack","",@progbits
	.addrsig
	.addrsig_sym __hip_cuid_4f9117c7b5a03f4b
	.amdgpu_metadata
---
amdhsa.kernels:
  - .args:
      - .actual_access:  read_only
        .address_space:  global
        .offset:         0
        .size:           8
        .value_kind:     global_buffer
      - .offset:         8
        .size:           8
        .value_kind:     by_value
      - .actual_access:  read_only
        .address_space:  global
        .offset:         16
        .size:           8
        .value_kind:     global_buffer
      - .actual_access:  read_only
        .address_space:  global
        .offset:         24
        .size:           8
        .value_kind:     global_buffer
      - .offset:         32
        .size:           8
        .value_kind:     by_value
      - .actual_access:  read_only
        .address_space:  global
        .offset:         40
        .size:           8
        .value_kind:     global_buffer
      - .actual_access:  read_only
        .address_space:  global
        .offset:         48
        .size:           8
        .value_kind:     global_buffer
      - .offset:         56
        .size:           4
        .value_kind:     by_value
      - .actual_access:  read_only
        .address_space:  global
        .offset:         64
        .size:           8
        .value_kind:     global_buffer
      - .actual_access:  read_only
        .address_space:  global
        .offset:         72
        .size:           8
        .value_kind:     global_buffer
      - .address_space:  global
        .offset:         80
        .size:           8
        .value_kind:     global_buffer
    .group_segment_fixed_size: 0
    .kernarg_segment_align: 8
    .kernarg_segment_size: 88
    .language:       OpenCL C
    .language_version:
      - 2
      - 0
    .max_flat_workgroup_size: 243
    .name:           fft_rtc_back_len162_factors_6_3_3_3_wgs_243_tpt_27_halfLds_sp_ip_CI_unitstride_sbrr_C2R_dirReg
    .private_segment_fixed_size: 0
    .sgpr_count:     26
    .sgpr_spill_count: 0
    .symbol:         fft_rtc_back_len162_factors_6_3_3_3_wgs_243_tpt_27_halfLds_sp_ip_CI_unitstride_sbrr_C2R_dirReg.kd
    .uniform_work_group_size: 1
    .uses_dynamic_stack: false
    .vgpr_count:     34
    .vgpr_spill_count: 0
    .wavefront_size: 64
amdhsa.target:   amdgcn-amd-amdhsa--gfx906
amdhsa.version:
  - 1
  - 2
...

	.end_amdgpu_metadata
